;; amdgpu-corpus repo=ROCm/rocFFT kind=compiled arch=gfx906 opt=O3
	.text
	.amdgcn_target "amdgcn-amd-amdhsa--gfx906"
	.amdhsa_code_object_version 6
	.protected	fft_rtc_fwd_len64_factors_8_8_wgs_64_tpt_8_halfLds_dim1_sp_op_CI_CI_unitstride_sbrr_R2C_dirReg ; -- Begin function fft_rtc_fwd_len64_factors_8_8_wgs_64_tpt_8_halfLds_dim1_sp_op_CI_CI_unitstride_sbrr_R2C_dirReg
	.globl	fft_rtc_fwd_len64_factors_8_8_wgs_64_tpt_8_halfLds_dim1_sp_op_CI_CI_unitstride_sbrr_R2C_dirReg
	.p2align	8
	.type	fft_rtc_fwd_len64_factors_8_8_wgs_64_tpt_8_halfLds_dim1_sp_op_CI_CI_unitstride_sbrr_R2C_dirReg,@function
fft_rtc_fwd_len64_factors_8_8_wgs_64_tpt_8_halfLds_dim1_sp_op_CI_CI_unitstride_sbrr_R2C_dirReg: ; @fft_rtc_fwd_len64_factors_8_8_wgs_64_tpt_8_halfLds_dim1_sp_op_CI_CI_unitstride_sbrr_R2C_dirReg
; %bb.0:
	s_load_dwordx2 s[0:1], s[4:5], 0x20
	s_load_dwordx2 s[2:3], s[4:5], 0x0
	v_lshrrev_b32_e32 v10, 3, v0
	v_lshl_or_b32 v5, s6, 3, v10
	v_mov_b32_e32 v6, 0
	s_waitcnt lgkmcnt(0)
	v_cmp_gt_u64_e32 vcc, s[0:1], v[5:6]
	v_cmp_le_u64_e64 s[0:1], s[0:1], v[5:6]
	v_and_b32_e32 v1, 7, v0
                                        ; implicit-def: $vgpr3
                                        ; implicit-def: $vgpr7
                                        ; implicit-def: $vgpr6
                                        ; implicit-def: $vgpr9
                                        ; implicit-def: $vgpr8
                                        ; implicit-def: $vgpr4
                                        ; implicit-def: $vgpr2
	s_and_saveexec_b64 s[6:7], s[0:1]
	s_xor_b64 s[0:1], exec, s[6:7]
; %bb.1:
	v_and_b32_e32 v1, 7, v0
	v_or_b32_e32 v3, 8, v1
	v_or_b32_e32 v7, 16, v1
	;; [unrolled: 1-line block ×7, first 2 shown]
; %bb.2:
	s_or_saveexec_b64 s[6:7], s[0:1]
	s_load_dwordx2 s[8:9], s[4:5], 0x18
	v_mul_u32_u24_e32 v0, 0x41, v10
	v_lshlrev_b32_e32 v0, 3, v0
	s_xor_b64 exec, exec, s[6:7]
	s_cbranch_execz .LBB0_4
; %bb.3:
	s_load_dwordx2 s[0:1], s[4:5], 0x10
	s_load_dwordx2 s[10:11], s[4:5], 0x50
	v_or_b32_e32 v7, 16, v1
	s_waitcnt lgkmcnt(0)
	s_load_dwordx2 s[0:1], s[0:1], 0x8
	v_mov_b32_e32 v6, s11
	s_waitcnt lgkmcnt(0)
	v_mad_u64_u32 v[2:3], s[12:13], s0, v5, 0
	v_mad_u64_u32 v[3:4], s[0:1], s1, v5, v[3:4]
	v_lshlrev_b32_e32 v4, 3, v1
	v_add3_u32 v24, 0, v0, v4
	v_lshlrev_b64 v[2:3], 3, v[2:3]
	v_add_co_u32_e64 v2, s[0:1], s10, v2
	v_addc_co_u32_e64 v3, s[0:1], v6, v3, s[0:1]
	v_add_co_u32_e64 v2, s[0:1], v2, v4
	v_addc_co_u32_e64 v3, s[0:1], 0, v3, s[0:1]
	global_load_dwordx2 v[8:9], v[2:3], off
	global_load_dwordx2 v[10:11], v[2:3], off offset:64
	global_load_dwordx2 v[12:13], v[2:3], off offset:128
	;; [unrolled: 1-line block ×7, first 2 shown]
	v_or_b32_e32 v3, 8, v1
	v_or_b32_e32 v6, 24, v1
	;; [unrolled: 1-line block ×4, first 2 shown]
	s_waitcnt vmcnt(6)
	ds_write2_b64 v24, v[8:9], v[10:11] offset1:8
	v_or_b32_e32 v9, 32, v1
	v_or_b32_e32 v8, 40, v1
	s_waitcnt vmcnt(4)
	ds_write2_b64 v24, v[12:13], v[14:15] offset0:16 offset1:24
	s_waitcnt vmcnt(2)
	ds_write2_b64 v24, v[16:17], v[18:19] offset0:32 offset1:40
	;; [unrolled: 2-line block ×3, first 2 shown]
.LBB0_4:
	s_or_b64 exec, exec, s[6:7]
	v_lshlrev_b32_e32 v25, 3, v1
	v_add3_u32 v26, 0, v25, v0
	s_waitcnt lgkmcnt(0)
	s_load_dwordx2 s[6:7], s[8:9], 0x8
	s_waitcnt lgkmcnt(0)
	; wave barrier
	s_waitcnt lgkmcnt(0)
	ds_read2_b64 v[10:13], v26 offset0:8 offset1:16
	ds_read2_b64 v[14:17], v26 offset0:40 offset1:48
	v_add_u32_e32 v0, 0, v0
	v_mad_u32_u24 v33, v1, 56, v26
	v_lshl_add_u32 v9, v9, 3, v0
	v_lshl_add_u32 v8, v8, 3, v0
	s_waitcnt lgkmcnt(0)
	v_sub_f32_e32 v19, v12, v16
	v_sub_f32_e32 v20, v13, v17
	;; [unrolled: 1-line block ×4, first 2 shown]
	v_fma_f32 v23, v12, 2.0, -v19
	v_fma_f32 v24, v13, 2.0, -v20
	;; [unrolled: 1-line block ×4, first 2 shown]
	v_add_u32_e32 v10, v0, v25
	ds_read_b64 v[15:16], v26 offset:448
	ds_read_b64 v[17:18], v10
	ds_read2_b64 v[11:14], v26 offset0:24 offset1:32
	s_waitcnt lgkmcnt(0)
	; wave barrier
	s_waitcnt lgkmcnt(0)
	v_lshl_add_u32 v4, v4, 3, v0
	v_lshl_add_u32 v2, v2, 3, v0
	v_sub_f32_e32 v15, v11, v15
	v_sub_f32_e32 v16, v12, v16
	v_fma_f32 v11, v11, 2.0, -v15
	v_fma_f32 v12, v12, 2.0, -v16
	v_sub_f32_e32 v29, v17, v13
	v_sub_f32_e32 v30, v18, v14
	;; [unrolled: 1-line block ×4, first 2 shown]
	v_fma_f32 v11, v27, 2.0, -v31
	v_fma_f32 v12, v28, 2.0, -v32
	v_sub_f32_e32 v27, v29, v20
	v_add_f32_e32 v28, v30, v19
	v_fma_f32 v13, v17, 2.0, -v29
	v_fma_f32 v14, v18, 2.0, -v30
	;; [unrolled: 1-line block ×4, first 2 shown]
	v_sub_f32_e32 v29, v21, v16
	v_add_f32_e32 v30, v22, v15
	v_sub_f32_e32 v23, v13, v23
	v_sub_f32_e32 v24, v14, v24
	v_fma_f32 v19, v21, 2.0, -v29
	v_fma_f32 v20, v22, 2.0, -v30
	v_mov_b32_e32 v15, v17
	v_mov_b32_e32 v16, v18
	v_fma_f32 v13, v13, 2.0, -v23
	v_fma_f32 v14, v14, 2.0, -v24
	v_fmac_f32_e32 v15, 0xbf3504f3, v19
	v_fmac_f32_e32 v16, 0xbf3504f3, v20
	v_sub_f32_e32 v11, v13, v11
	v_sub_f32_e32 v12, v14, v12
	v_fmac_f32_e32 v15, 0xbf3504f3, v20
	v_fmac_f32_e32 v16, 0x3f3504f3, v19
	v_mov_b32_e32 v19, v27
	v_mov_b32_e32 v20, v28
	v_fma_f32 v13, v13, 2.0, -v11
	v_fma_f32 v14, v14, 2.0, -v12
	;; [unrolled: 1-line block ×4, first 2 shown]
	v_fmac_f32_e32 v19, 0x3f3504f3, v29
	v_fmac_f32_e32 v20, 0x3f3504f3, v30
	ds_write2_b64 v33, v[13:14], v[17:18] offset1:1
	v_sub_f32_e32 v13, v23, v32
	v_add_f32_e32 v14, v24, v31
	v_fmac_f32_e32 v19, 0xbf3504f3, v30
	v_fmac_f32_e32 v20, 0x3f3504f3, v29
	v_fma_f32 v17, v23, 2.0, -v13
	v_fma_f32 v18, v24, 2.0, -v14
	;; [unrolled: 1-line block ×4, first 2 shown]
	ds_write2_b64 v33, v[17:18], v[21:22] offset0:2 offset1:3
	ds_write2_b64 v33, v[11:12], v[15:16] offset0:4 offset1:5
	;; [unrolled: 1-line block ×3, first 2 shown]
	v_mul_u32_u24_e32 v11, 7, v1
	v_lshlrev_b32_e32 v27, 3, v11
	s_waitcnt lgkmcnt(0)
	; wave barrier
	s_waitcnt lgkmcnt(0)
	global_load_dwordx4 v[11:14], v27, s[2:3]
	global_load_dwordx4 v[15:18], v27, s[2:3] offset:16
	ds_read2_b64 v[19:22], v26 offset0:8 offset1:16
	v_cmp_ne_u32_e64 s[0:1], 0, v1
	s_waitcnt vmcnt(1) lgkmcnt(0)
	v_mul_f32_e32 v23, v12, v20
	v_mul_f32_e32 v29, v12, v19
	v_fma_f32 v28, v11, v19, -v23
	v_fmac_f32_e32 v29, v11, v20
	v_mul_f32_e32 v11, v14, v22
	v_mul_f32_e32 v31, v14, v21
	v_fma_f32 v30, v13, v21, -v11
	v_fmac_f32_e32 v31, v13, v22
	ds_read2_b64 v[11:14], v26 offset0:24 offset1:32
	s_waitcnt vmcnt(0) lgkmcnt(0)
	v_mul_f32_e32 v19, v16, v12
	v_fma_f32 v32, v15, v11, -v19
	v_mul_f32_e32 v33, v16, v11
	v_mul_f32_e32 v11, v18, v14
	;; [unrolled: 1-line block ×3, first 2 shown]
	v_fmac_f32_e32 v33, v15, v12
	v_fma_f32 v34, v17, v13, -v11
	v_fmac_f32_e32 v35, v17, v14
	global_load_dwordx2 v[15:16], v27, s[2:3] offset:48
	ds_read2_b32 v[17:18], v26 offset0:96 offset1:97
	ds_read_b64 v[19:20], v26 offset:448
	ds_read_b64 v[21:22], v26 offset:320
	ds_read_b64 v[23:24], v10
	global_load_dwordx4 v[11:14], v27, s[2:3] offset:32
	s_waitcnt lgkmcnt(0)
	; wave barrier
	s_waitcnt vmcnt(0) lgkmcnt(0)
	v_mul_f32_e32 v27, v12, v22
	v_mul_f32_e32 v12, v12, v21
	v_fma_f32 v27, v11, v21, -v27
	v_fmac_f32_e32 v12, v11, v22
	v_mul_f32_e32 v11, v18, v14
	v_mul_f32_e32 v14, v14, v17
	v_fma_f32 v11, v13, v17, -v11
	v_fmac_f32_e32 v14, v18, v13
	;; [unrolled: 4-line block ×3, first 2 shown]
	v_sub_f32_e32 v17, v23, v34
	v_sub_f32_e32 v18, v24, v35
	v_fma_f32 v15, v23, 2.0, -v17
	v_sub_f32_e32 v20, v30, v11
	v_sub_f32_e32 v14, v31, v14
	;; [unrolled: 1-line block ×6, first 2 shown]
	v_fma_f32 v19, v24, 2.0, -v18
	v_fma_f32 v11, v30, 2.0, -v20
	;; [unrolled: 1-line block ×7, first 2 shown]
	v_sub_f32_e32 v29, v15, v11
	v_sub_f32_e32 v30, v19, v21
	;; [unrolled: 1-line block ×4, first 2 shown]
	v_fma_f32 v11, v15, 2.0, -v29
	v_fma_f32 v19, v19, 2.0, -v30
	v_fma_f32 v12, v12, 2.0, -v21
	v_fma_f32 v16, v24, 2.0, -v28
	v_sub_f32_e32 v15, v11, v12
	v_sub_f32_e32 v16, v19, v16
	v_fma_f32 v11, v11, 2.0, -v15
	v_fma_f32 v12, v19, 2.0, -v16
	ds_write_b64 v26, v[11:12]
	v_sub_f32_e32 v24, v17, v14
	v_add_f32_e32 v26, v18, v20
	v_fma_f32 v11, v17, 2.0, -v24
	v_fma_f32 v12, v18, 2.0, -v26
	v_sub_f32_e32 v27, v22, v27
	v_add_f32_e32 v13, v23, v13
	v_fma_f32 v14, v22, 2.0, -v27
	v_fma_f32 v19, v23, 2.0, -v13
	v_mov_b32_e32 v17, v11
	v_mov_b32_e32 v18, v12
	v_fmac_f32_e32 v17, 0xbf3504f3, v14
	v_fmac_f32_e32 v18, 0xbf3504f3, v19
	;; [unrolled: 1-line block ×4, first 2 shown]
	v_fma_f32 v11, v11, 2.0, -v17
	v_fma_f32 v12, v12, 2.0, -v18
	v_lshl_add_u32 v14, v3, 3, v0
	v_sub_f32_e32 v19, v29, v28
	v_add_f32_e32 v20, v30, v21
	ds_write_b64 v14, v[11:12]
	v_fma_f32 v21, v29, 2.0, -v19
	v_fma_f32 v22, v30, 2.0, -v20
	v_lshl_add_u32 v12, v7, 3, v0
	ds_write_b64 v12, v[21:22]
	v_mov_b32_e32 v21, v24
	v_mov_b32_e32 v22, v26
	v_fmac_f32_e32 v21, 0x3f3504f3, v27
	v_fmac_f32_e32 v22, 0x3f3504f3, v13
	;; [unrolled: 1-line block ×4, first 2 shown]
	v_fma_f32 v23, v24, 2.0, -v21
	v_fma_f32 v24, v26, 2.0, -v22
	v_lshl_add_u32 v11, v6, 3, v0
	ds_write_b64 v11, v[23:24]
	ds_write_b64 v9, v[15:16]
	;; [unrolled: 1-line block ×5, first 2 shown]
	s_waitcnt lgkmcnt(0)
	; wave barrier
	s_waitcnt lgkmcnt(0)
	ds_read_b64 v[8:9], v10
	v_sub_u32_e32 v13, v0, v25
                                        ; implicit-def: $vgpr15
                                        ; implicit-def: $vgpr2
	s_and_saveexec_b64 s[8:9], s[0:1]
	s_xor_b64 s[8:9], exec, s[8:9]
	s_cbranch_execz .LBB0_6
; %bb.5:
	v_mov_b32_e32 v2, 0
	v_lshlrev_b64 v[15:16], 3, v[1:2]
	v_mov_b32_e32 v2, s3
	v_add_co_u32_e64 v15, s[0:1], s2, v15
	v_addc_co_u32_e64 v16, s[0:1], v2, v16, s[0:1]
	global_load_dwordx2 v[15:16], v[15:16], off offset:448
	ds_read_b64 v[17:18], v13 offset:512
	s_waitcnt lgkmcnt(0)
	v_add_f32_e32 v4, v17, v8
	v_add_f32_e32 v2, v18, v9
	v_sub_f32_e32 v8, v8, v17
	v_sub_f32_e32 v9, v9, v18
	v_mul_f32_e32 v17, 0.5, v2
	v_mul_f32_e32 v8, 0.5, v8
	;; [unrolled: 1-line block ×3, first 2 shown]
	s_waitcnt vmcnt(0)
	v_mul_f32_e32 v9, v16, v8
	v_fma_f32 v18, v17, v16, v2
	v_fma_f32 v16, v17, v16, -v2
	v_fma_f32 v2, 0.5, v4, v9
	v_fma_f32 v18, -v15, v8, v18
	v_fma_f32 v4, v4, 0.5, -v9
	v_fma_f32 v8, -v15, v8, v16
	v_fmac_f32_e32 v2, v15, v17
	ds_write_b32 v10, v18 offset:4
	v_fma_f32 v15, -v15, v17, v4
	ds_write_b32 v13, v8 offset:516
                                        ; implicit-def: $vgpr8_vgpr9
.LBB0_6:
	s_andn2_saveexec_b64 s[0:1], s[8:9]
	s_cbranch_execz .LBB0_8
; %bb.7:
	v_mov_b32_e32 v2, 0
	ds_write_b32 v10, v2 offset:4
	ds_write_b32 v13, v2 offset:516
	ds_read_b32 v4, v0 offset:260
	s_waitcnt lgkmcnt(3)
	v_add_f32_e32 v2, v8, v9
	v_sub_f32_e32 v15, v8, v9
	s_waitcnt lgkmcnt(0)
	v_xor_b32_e32 v4, 0x80000000, v4
	ds_write_b32 v0, v4 offset:260
.LBB0_8:
	s_or_b64 exec, exec, s[0:1]
	v_mov_b32_e32 v4, 0
	s_waitcnt lgkmcnt(0)
	v_lshlrev_b64 v[8:9], 3, v[3:4]
	v_mov_b32_e32 v3, s3
	v_add_co_u32_e64 v8, s[0:1], s2, v8
	v_addc_co_u32_e64 v9, s[0:1], v3, v9, s[0:1]
	global_load_dwordx2 v[16:17], v[8:9], off offset:448
	v_mov_b32_e32 v8, v4
	v_lshlrev_b64 v[7:8], 3, v[7:8]
	v_add_co_u32_e64 v7, s[0:1], s2, v7
	v_addc_co_u32_e64 v8, s[0:1], v3, v8, s[0:1]
	global_load_dwordx2 v[8:9], v[7:8], off offset:448
	v_mov_b32_e32 v7, v4
	v_lshlrev_b64 v[6:7], 3, v[6:7]
	v_add_co_u32_e64 v6, s[0:1], s2, v6
	v_addc_co_u32_e64 v7, s[0:1], v3, v7, s[0:1]
	global_load_dwordx2 v[6:7], v[6:7], off offset:448
	ds_write_b32 v10, v2
	ds_write_b32 v13, v15 offset:512
	ds_read_b64 v[2:3], v14
	ds_read_b64 v[18:19], v13 offset:448
	s_waitcnt lgkmcnt(0)
	v_add_f32_e32 v10, v2, v18
	v_sub_f32_e32 v2, v2, v18
	v_add_f32_e32 v15, v3, v19
	v_sub_f32_e32 v3, v3, v19
	v_mul_f32_e32 v2, 0.5, v2
	v_mul_f32_e32 v15, 0.5, v15
	v_mul_f32_e32 v3, 0.5, v3
	s_waitcnt vmcnt(2)
	v_mul_f32_e32 v18, v17, v2
	v_fma_f32 v19, v15, v17, v3
	v_fma_f32 v3, v15, v17, -v3
	v_fma_f32 v17, 0.5, v10, v18
	v_fma_f32 v19, -v16, v2, v19
	v_fma_f32 v10, v10, 0.5, -v18
	v_fmac_f32_e32 v17, v16, v15
	v_fma_f32 v3, -v16, v2, v3
	v_fma_f32 v2, -v16, v15, v10
	ds_write2_b32 v14, v17, v19 offset1:1
	ds_write_b64 v13, v[2:3] offset:448
	ds_read_b64 v[2:3], v12
	ds_read_b64 v[14:15], v13 offset:384
	s_waitcnt lgkmcnt(0)
	v_add_f32_e32 v10, v2, v14
	v_sub_f32_e32 v2, v2, v14
	v_add_f32_e32 v16, v3, v15
	v_sub_f32_e32 v3, v3, v15
	v_mul_f32_e32 v2, 0.5, v2
	v_mul_f32_e32 v14, 0.5, v16
	v_mul_f32_e32 v3, 0.5, v3
	s_waitcnt vmcnt(1)
	v_mul_f32_e32 v15, v9, v2
	v_fma_f32 v16, v14, v9, v3
	v_fma_f32 v3, v14, v9, -v3
	v_fma_f32 v9, 0.5, v10, v15
	v_fma_f32 v16, -v8, v2, v16
	v_fma_f32 v10, v10, 0.5, -v15
	v_fmac_f32_e32 v9, v8, v14
	v_fma_f32 v3, -v8, v2, v3
	v_fma_f32 v2, -v8, v14, v10
	ds_write2_b32 v12, v9, v16 offset1:1
	ds_write_b64 v13, v[2:3] offset:384
	;; [unrolled: 22-line block ×3, first 2 shown]
	s_waitcnt lgkmcnt(0)
	; wave barrier
	s_waitcnt lgkmcnt(0)
	s_and_saveexec_b64 s[0:1], vcc
	s_cbranch_execz .LBB0_11
; %bb.9:
	v_mad_u64_u32 v[11:12], s[0:1], s6, v5, 0
	s_load_dwordx2 s[0:1], s[4:5], 0x58
	v_lshl_add_u32 v0, v1, 3, v0
	v_mov_b32_e32 v2, v12
	v_mad_u64_u32 v[5:6], s[2:3], s7, v5, v[2:3]
	v_mov_b32_e32 v2, v4
	ds_read2_b64 v[7:10], v0 offset1:8
	v_mov_b32_e32 v12, v5
	v_lshlrev_b64 v[5:6], 3, v[11:12]
	s_waitcnt lgkmcnt(0)
	v_mov_b32_e32 v3, s1
	v_add_co_u32_e32 v5, vcc, s0, v5
	v_addc_co_u32_e32 v6, vcc, v3, v6, vcc
	v_lshlrev_b64 v[2:3], 3, v[1:2]
	v_add_co_u32_e32 v2, vcc, v5, v2
	v_addc_co_u32_e32 v3, vcc, v6, v3, vcc
	global_store_dwordx2 v[2:3], v[7:8], off
	v_add_u32_e32 v3, 8, v1
	v_lshlrev_b64 v[2:3], 3, v[3:4]
	v_add_co_u32_e32 v2, vcc, v5, v2
	v_addc_co_u32_e32 v3, vcc, v6, v3, vcc
	global_store_dwordx2 v[2:3], v[9:10], off
	v_add_u32_e32 v3, 16, v1
	ds_read2_b64 v[7:10], v0 offset0:16 offset1:24
	v_lshlrev_b64 v[2:3], 3, v[3:4]
	v_add_co_u32_e32 v2, vcc, v5, v2
	v_addc_co_u32_e32 v3, vcc, v6, v3, vcc
	s_waitcnt lgkmcnt(0)
	global_store_dwordx2 v[2:3], v[7:8], off
	v_add_u32_e32 v3, 24, v1
	v_lshlrev_b64 v[2:3], 3, v[3:4]
	v_add_co_u32_e32 v2, vcc, v5, v2
	v_addc_co_u32_e32 v3, vcc, v6, v3, vcc
	global_store_dwordx2 v[2:3], v[9:10], off
	v_add_u32_e32 v3, 32, v1
	ds_read2_b64 v[7:10], v0 offset0:32 offset1:40
	v_lshlrev_b64 v[2:3], 3, v[3:4]
	v_add_co_u32_e32 v2, vcc, v5, v2
	v_addc_co_u32_e32 v3, vcc, v6, v3, vcc
	s_waitcnt lgkmcnt(0)
	;; [unrolled: 12-line block ×3, first 2 shown]
	global_store_dwordx2 v[2:3], v[7:8], off
	v_add_u32_e32 v3, 56, v1
	v_lshlrev_b64 v[2:3], 3, v[3:4]
	v_add_co_u32_e32 v2, vcc, v5, v2
	v_addc_co_u32_e32 v3, vcc, v6, v3, vcc
	v_cmp_eq_u32_e32 vcc, 7, v1
	global_store_dwordx2 v[2:3], v[9:10], off
	s_and_b64 exec, exec, vcc
	s_cbranch_execz .LBB0_11
; %bb.10:
	ds_read_b64 v[0:1], v0 offset:456
	s_waitcnt lgkmcnt(0)
	global_store_dwordx2 v[5:6], v[0:1], off offset:512
.LBB0_11:
	s_endpgm
	.section	.rodata,"a",@progbits
	.p2align	6, 0x0
	.amdhsa_kernel fft_rtc_fwd_len64_factors_8_8_wgs_64_tpt_8_halfLds_dim1_sp_op_CI_CI_unitstride_sbrr_R2C_dirReg
		.amdhsa_group_segment_fixed_size 0
		.amdhsa_private_segment_fixed_size 0
		.amdhsa_kernarg_size 96
		.amdhsa_user_sgpr_count 6
		.amdhsa_user_sgpr_private_segment_buffer 1
		.amdhsa_user_sgpr_dispatch_ptr 0
		.amdhsa_user_sgpr_queue_ptr 0
		.amdhsa_user_sgpr_kernarg_segment_ptr 1
		.amdhsa_user_sgpr_dispatch_id 0
		.amdhsa_user_sgpr_flat_scratch_init 0
		.amdhsa_user_sgpr_private_segment_size 0
		.amdhsa_uses_dynamic_stack 0
		.amdhsa_system_sgpr_private_segment_wavefront_offset 0
		.amdhsa_system_sgpr_workgroup_id_x 1
		.amdhsa_system_sgpr_workgroup_id_y 0
		.amdhsa_system_sgpr_workgroup_id_z 0
		.amdhsa_system_sgpr_workgroup_info 0
		.amdhsa_system_vgpr_workitem_id 0
		.amdhsa_next_free_vgpr 36
		.amdhsa_next_free_sgpr 14
		.amdhsa_reserve_vcc 1
		.amdhsa_reserve_flat_scratch 0
		.amdhsa_float_round_mode_32 0
		.amdhsa_float_round_mode_16_64 0
		.amdhsa_float_denorm_mode_32 3
		.amdhsa_float_denorm_mode_16_64 3
		.amdhsa_dx10_clamp 1
		.amdhsa_ieee_mode 1
		.amdhsa_fp16_overflow 0
		.amdhsa_exception_fp_ieee_invalid_op 0
		.amdhsa_exception_fp_denorm_src 0
		.amdhsa_exception_fp_ieee_div_zero 0
		.amdhsa_exception_fp_ieee_overflow 0
		.amdhsa_exception_fp_ieee_underflow 0
		.amdhsa_exception_fp_ieee_inexact 0
		.amdhsa_exception_int_div_zero 0
	.end_amdhsa_kernel
	.text
.Lfunc_end0:
	.size	fft_rtc_fwd_len64_factors_8_8_wgs_64_tpt_8_halfLds_dim1_sp_op_CI_CI_unitstride_sbrr_R2C_dirReg, .Lfunc_end0-fft_rtc_fwd_len64_factors_8_8_wgs_64_tpt_8_halfLds_dim1_sp_op_CI_CI_unitstride_sbrr_R2C_dirReg
                                        ; -- End function
	.section	.AMDGPU.csdata,"",@progbits
; Kernel info:
; codeLenInByte = 2768
; NumSgprs: 18
; NumVgprs: 36
; ScratchSize: 0
; MemoryBound: 0
; FloatMode: 240
; IeeeMode: 1
; LDSByteSize: 0 bytes/workgroup (compile time only)
; SGPRBlocks: 2
; VGPRBlocks: 8
; NumSGPRsForWavesPerEU: 18
; NumVGPRsForWavesPerEU: 36
; Occupancy: 7
; WaveLimiterHint : 1
; COMPUTE_PGM_RSRC2:SCRATCH_EN: 0
; COMPUTE_PGM_RSRC2:USER_SGPR: 6
; COMPUTE_PGM_RSRC2:TRAP_HANDLER: 0
; COMPUTE_PGM_RSRC2:TGID_X_EN: 1
; COMPUTE_PGM_RSRC2:TGID_Y_EN: 0
; COMPUTE_PGM_RSRC2:TGID_Z_EN: 0
; COMPUTE_PGM_RSRC2:TIDIG_COMP_CNT: 0
	.type	__hip_cuid_67e6f0285729e7af,@object ; @__hip_cuid_67e6f0285729e7af
	.section	.bss,"aw",@nobits
	.globl	__hip_cuid_67e6f0285729e7af
__hip_cuid_67e6f0285729e7af:
	.byte	0                               ; 0x0
	.size	__hip_cuid_67e6f0285729e7af, 1

	.ident	"AMD clang version 19.0.0git (https://github.com/RadeonOpenCompute/llvm-project roc-6.4.0 25133 c7fe45cf4b819c5991fe208aaa96edf142730f1d)"
	.section	".note.GNU-stack","",@progbits
	.addrsig
	.addrsig_sym __hip_cuid_67e6f0285729e7af
	.amdgpu_metadata
---
amdhsa.kernels:
  - .args:
      - .actual_access:  read_only
        .address_space:  global
        .offset:         0
        .size:           8
        .value_kind:     global_buffer
      - .actual_access:  read_only
        .address_space:  global
        .offset:         8
        .size:           8
        .value_kind:     global_buffer
      - .actual_access:  read_only
        .address_space:  global
        .offset:         16
        .size:           8
        .value_kind:     global_buffer
      - .actual_access:  read_only
        .address_space:  global
        .offset:         24
        .size:           8
        .value_kind:     global_buffer
      - .offset:         32
        .size:           8
        .value_kind:     by_value
      - .actual_access:  read_only
        .address_space:  global
        .offset:         40
        .size:           8
        .value_kind:     global_buffer
      - .actual_access:  read_only
        .address_space:  global
        .offset:         48
        .size:           8
        .value_kind:     global_buffer
      - .offset:         56
        .size:           4
        .value_kind:     by_value
      - .actual_access:  read_only
        .address_space:  global
        .offset:         64
        .size:           8
        .value_kind:     global_buffer
      - .actual_access:  read_only
        .address_space:  global
        .offset:         72
        .size:           8
        .value_kind:     global_buffer
      - .actual_access:  read_only
        .address_space:  global
        .offset:         80
        .size:           8
        .value_kind:     global_buffer
      - .actual_access:  write_only
        .address_space:  global
        .offset:         88
        .size:           8
        .value_kind:     global_buffer
    .group_segment_fixed_size: 0
    .kernarg_segment_align: 8
    .kernarg_segment_size: 96
    .language:       OpenCL C
    .language_version:
      - 2
      - 0
    .max_flat_workgroup_size: 64
    .name:           fft_rtc_fwd_len64_factors_8_8_wgs_64_tpt_8_halfLds_dim1_sp_op_CI_CI_unitstride_sbrr_R2C_dirReg
    .private_segment_fixed_size: 0
    .sgpr_count:     18
    .sgpr_spill_count: 0
    .symbol:         fft_rtc_fwd_len64_factors_8_8_wgs_64_tpt_8_halfLds_dim1_sp_op_CI_CI_unitstride_sbrr_R2C_dirReg.kd
    .uniform_work_group_size: 1
    .uses_dynamic_stack: false
    .vgpr_count:     36
    .vgpr_spill_count: 0
    .wavefront_size: 64
amdhsa.target:   amdgcn-amd-amdhsa--gfx906
amdhsa.version:
  - 1
  - 2
...

	.end_amdgpu_metadata
